;; amdgpu-corpus repo=llvm/llvm-project kind=harvested arch=n/a opt=n/a
// NOTE: Assertions have been autogenerated by utils/update_mc_test_checks.py UTC_ARGS: --unique --sort --version 6
// RUN: not llvm-mc -triple=amdgcn -mcpu=gfx1030 %s -filetype=null 2>&1 | FileCheck --check-prefixes=GFX1030,GFX10 --implicit-check-not=error: %s
// RUN: not llvm-mc -triple=amdgcn -mcpu=gfx1031 %s -filetype=null 2>&1 | FileCheck --check-prefixes=GFX1031,GFX10 --implicit-check-not=error: %s
// RUN: not llvm-mc -triple=amdgcn -mcpu=gfx1032 %s -filetype=null 2>&1 | FileCheck --check-prefixes=GFX1032,GFX10 --implicit-check-not=error: %s
// RUN: not llvm-mc -triple=amdgcn -mcpu=gfx1033 %s -filetype=null 2>&1 | FileCheck --check-prefixes=GFX1033,GFX10 --implicit-check-not=error: %s
// RUN: not llvm-mc -triple=amdgcn -mcpu=gfx1034 %s -filetype=null 2>&1 | FileCheck --check-prefixes=GFX1034,GFX10 --implicit-check-not=error: %s
// RUN: not llvm-mc -triple=amdgcn -mcpu=gfx1035 %s -filetype=null 2>&1 | FileCheck --check-prefixes=GFX1035,GFX10 --implicit-check-not=error: %s
// RUN: not llvm-mc -triple=amdgcn -mcpu=gfx1036 %s -filetype=null 2>&1 | FileCheck --check-prefixes=GFX1036,GFX10 --implicit-check-not=error: %s

// op_sel not allowed in dot opcodes with 4- or 8-bit packed data

//===----------------------------------------------------------------------===//
// s_waitcnt_depctr.
//===----------------------------------------------------------------------===//

ds_add_src2_f32 v1 offset:65535
// GFX1030: :[[@LINE-1]]:1: error: instruction not supported on this GPU (gfx1030): ds_add_src2_f32
// GFX1031: :[[@LINE-2]]:1: error: instruction not supported on this GPU (gfx1031): ds_add_src2_f32
// GFX1032: :[[@LINE-3]]:1: error: instruction not supported on this GPU (gfx1032): ds_add_src2_f32
// GFX1033: :[[@LINE-4]]:1: error: instruction not supported on this GPU (gfx1033): ds_add_src2_f32
// GFX1034: :[[@LINE-5]]:1: error: instruction not supported on this GPU (gfx1034): ds_add_src2_f32
// GFX1035: :[[@LINE-6]]:1: error: instruction not supported on this GPU (gfx1035): ds_add_src2_f32
// GFX1036: :[[@LINE-7]]:1: error: instruction not supported on this GPU (gfx1036): ds_add_src2_f32

ds_add_src2_u32 v1 offset:65535
// GFX1030: :[[@LINE-1]]:1: error: instruction not supported on this GPU (gfx1030): ds_add_src2_u32
// GFX1031: :[[@LINE-2]]:1: error: instruction not supported on this GPU (gfx1031): ds_add_src2_u32
// GFX1032: :[[@LINE-3]]:1: error: instruction not supported on this GPU (gfx1032): ds_add_src2_u32
// GFX1033: :[[@LINE-4]]:1: error: instruction not supported on this GPU (gfx1033): ds_add_src2_u32
// GFX1034: :[[@LINE-5]]:1: error: instruction not supported on this GPU (gfx1034): ds_add_src2_u32
// GFX1035: :[[@LINE-6]]:1: error: instruction not supported on this GPU (gfx1035): ds_add_src2_u32
// GFX1036: :[[@LINE-7]]:1: error: instruction not supported on this GPU (gfx1036): ds_add_src2_u32

ds_add_src2_u32 v1 offset:65535 gds
// GFX1030: :[[@LINE-1]]:1: error: instruction not supported on this GPU (gfx1030): ds_add_src2_u32
// GFX1031: :[[@LINE-2]]:1: error: instruction not supported on this GPU (gfx1031): ds_add_src2_u32
// GFX1032: :[[@LINE-3]]:1: error: instruction not supported on this GPU (gfx1032): ds_add_src2_u32
// GFX1033: :[[@LINE-4]]:1: error: instruction not supported on this GPU (gfx1033): ds_add_src2_u32
// GFX1034: :[[@LINE-5]]:1: error: instruction not supported on this GPU (gfx1034): ds_add_src2_u32
// GFX1035: :[[@LINE-6]]:1: error: instruction not supported on this GPU (gfx1035): ds_add_src2_u32
// GFX1036: :[[@LINE-7]]:1: error: instruction not supported on this GPU (gfx1036): ds_add_src2_u32

ds_add_src2_u64 v1 offset:65535
// GFX1030: :[[@LINE-1]]:1: error: instruction not supported on this GPU (gfx1030): ds_add_src2_u64
// GFX1031: :[[@LINE-2]]:1: error: instruction not supported on this GPU (gfx1031): ds_add_src2_u64
// GFX1032: :[[@LINE-3]]:1: error: instruction not supported on this GPU (gfx1032): ds_add_src2_u64
// GFX1033: :[[@LINE-4]]:1: error: instruction not supported on this GPU (gfx1033): ds_add_src2_u64
// GFX1034: :[[@LINE-5]]:1: error: instruction not supported on this GPU (gfx1034): ds_add_src2_u64
// GFX1035: :[[@LINE-6]]:1: error: instruction not supported on this GPU (gfx1035): ds_add_src2_u64
// GFX1036: :[[@LINE-7]]:1: error: instruction not supported on this GPU (gfx1036): ds_add_src2_u64

ds_and_src2_b32 v1 offset:65535
// GFX1030: :[[@LINE-1]]:1: error: instruction not supported on this GPU (gfx1030): ds_and_src2_b32
// GFX1031: :[[@LINE-2]]:1: error: instruction not supported on this GPU (gfx1031): ds_and_src2_b32
// GFX1032: :[[@LINE-3]]:1: error: instruction not supported on this GPU (gfx1032): ds_and_src2_b32
// GFX1033: :[[@LINE-4]]:1: error: instruction not supported on this GPU (gfx1033): ds_and_src2_b32
// GFX1034: :[[@LINE-5]]:1: error: instruction not supported on this GPU (gfx1034): ds_and_src2_b32
// GFX1035: :[[@LINE-6]]:1: error: instruction not supported on this GPU (gfx1035): ds_and_src2_b32
// GFX1036: :[[@LINE-7]]:1: error: instruction not supported on this GPU (gfx1036): ds_and_src2_b32

ds_and_src2_b64 v1 offset:65535
// GFX1030: :[[@LINE-1]]:1: error: instruction not supported on this GPU (gfx1030): ds_and_src2_b64
// GFX1031: :[[@LINE-2]]:1: error: instruction not supported on this GPU (gfx1031): ds_and_src2_b64
// GFX1032: :[[@LINE-3]]:1: error: instruction not supported on this GPU (gfx1032): ds_and_src2_b64
// GFX1033: :[[@LINE-4]]:1: error: instruction not supported on this GPU (gfx1033): ds_and_src2_b64
// GFX1034: :[[@LINE-5]]:1: error: instruction not supported on this GPU (gfx1034): ds_and_src2_b64
// GFX1035: :[[@LINE-6]]:1: error: instruction not supported on this GPU (gfx1035): ds_and_src2_b64
// GFX1036: :[[@LINE-7]]:1: error: instruction not supported on this GPU (gfx1036): ds_and_src2_b64

ds_dec_src2_u32 v1 offset:65535
// GFX1030: :[[@LINE-1]]:1: error: instruction not supported on this GPU (gfx1030): ds_dec_src2_u32
// GFX1031: :[[@LINE-2]]:1: error: instruction not supported on this GPU (gfx1031): ds_dec_src2_u32
// GFX1032: :[[@LINE-3]]:1: error: instruction not supported on this GPU (gfx1032): ds_dec_src2_u32
// GFX1033: :[[@LINE-4]]:1: error: instruction not supported on this GPU (gfx1033): ds_dec_src2_u32
// GFX1034: :[[@LINE-5]]:1: error: instruction not supported on this GPU (gfx1034): ds_dec_src2_u32
// GFX1035: :[[@LINE-6]]:1: error: instruction not supported on this GPU (gfx1035): ds_dec_src2_u32
// GFX1036: :[[@LINE-7]]:1: error: instruction not supported on this GPU (gfx1036): ds_dec_src2_u32

ds_dec_src2_u64 v1 offset:65535
// GFX1030: :[[@LINE-1]]:1: error: instruction not supported on this GPU (gfx1030): ds_dec_src2_u64
// GFX1031: :[[@LINE-2]]:1: error: instruction not supported on this GPU (gfx1031): ds_dec_src2_u64
// GFX1032: :[[@LINE-3]]:1: error: instruction not supported on this GPU (gfx1032): ds_dec_src2_u64
// GFX1033: :[[@LINE-4]]:1: error: instruction not supported on this GPU (gfx1033): ds_dec_src2_u64
// GFX1034: :[[@LINE-5]]:1: error: instruction not supported on this GPU (gfx1034): ds_dec_src2_u64
// GFX1035: :[[@LINE-6]]:1: error: instruction not supported on this GPU (gfx1035): ds_dec_src2_u64
// GFX1036: :[[@LINE-7]]:1: error: instruction not supported on this GPU (gfx1036): ds_dec_src2_u64

ds_inc_src2_u32 v1 offset:65535
// GFX1030: :[[@LINE-1]]:1: error: instruction not supported on this GPU (gfx1030): ds_inc_src2_u32
// GFX1031: :[[@LINE-2]]:1: error: instruction not supported on this GPU (gfx1031): ds_inc_src2_u32
// GFX1032: :[[@LINE-3]]:1: error: instruction not supported on this GPU (gfx1032): ds_inc_src2_u32
// GFX1033: :[[@LINE-4]]:1: error: instruction not supported on this GPU (gfx1033): ds_inc_src2_u32
// GFX1034: :[[@LINE-5]]:1: error: instruction not supported on this GPU (gfx1034): ds_inc_src2_u32
// GFX1035: :[[@LINE-6]]:1: error: instruction not supported on this GPU (gfx1035): ds_inc_src2_u32
// GFX1036: :[[@LINE-7]]:1: error: instruction not supported on this GPU (gfx1036): ds_inc_src2_u32

ds_inc_src2_u64 v1 offset:65535
// GFX1030: :[[@LINE-1]]:1: error: instruction not supported on this GPU (gfx1030): ds_inc_src2_u64
// GFX1031: :[[@LINE-2]]:1: error: instruction not supported on this GPU (gfx1031): ds_inc_src2_u64
// GFX1032: :[[@LINE-3]]:1: error: instruction not supported on this GPU (gfx1032): ds_inc_src2_u64
// GFX1033: :[[@LINE-4]]:1: error: instruction not supported on this GPU (gfx1033): ds_inc_src2_u64
// GFX1034: :[[@LINE-5]]:1: error: instruction not supported on this GPU (gfx1034): ds_inc_src2_u64
// GFX1035: :[[@LINE-6]]:1: error: instruction not supported on this GPU (gfx1035): ds_inc_src2_u64
// GFX1036: :[[@LINE-7]]:1: error: instruction not supported on this GPU (gfx1036): ds_inc_src2_u64

ds_max_src2_f32 v1 offset:65535
// GFX1030: :[[@LINE-1]]:1: error: instruction not supported on this GPU (gfx1030): ds_max_src2_f32
// GFX1031: :[[@LINE-2]]:1: error: instruction not supported on this GPU (gfx1031): ds_max_src2_f32
// GFX1032: :[[@LINE-3]]:1: error: instruction not supported on this GPU (gfx1032): ds_max_src2_f32
// GFX1033: :[[@LINE-4]]:1: error: instruction not supported on this GPU (gfx1033): ds_max_src2_f32
// GFX1034: :[[@LINE-5]]:1: error: instruction not supported on this GPU (gfx1034): ds_max_src2_f32
// GFX1035: :[[@LINE-6]]:1: error: instruction not supported on this GPU (gfx1035): ds_max_src2_f32
// GFX1036: :[[@LINE-7]]:1: error: instruction not supported on this GPU (gfx1036): ds_max_src2_f32

ds_max_src2_f64 v1 offset:65535
// GFX1030: :[[@LINE-1]]:1: error: instruction not supported on this GPU (gfx1030): ds_max_src2_f64
// GFX1031: :[[@LINE-2]]:1: error: instruction not supported on this GPU (gfx1031): ds_max_src2_f64
// GFX1032: :[[@LINE-3]]:1: error: instruction not supported on this GPU (gfx1032): ds_max_src2_f64
// GFX1033: :[[@LINE-4]]:1: error: instruction not supported on this GPU (gfx1033): ds_max_src2_f64
// GFX1034: :[[@LINE-5]]:1: error: instruction not supported on this GPU (gfx1034): ds_max_src2_f64
// GFX1035: :[[@LINE-6]]:1: error: instruction not supported on this GPU (gfx1035): ds_max_src2_f64
// GFX1036: :[[@LINE-7]]:1: error: instruction not supported on this GPU (gfx1036): ds_max_src2_f64

ds_max_src2_i32 v1 offset:65535
// GFX1030: :[[@LINE-1]]:1: error: instruction not supported on this GPU (gfx1030): ds_max_src2_i32
// GFX1031: :[[@LINE-2]]:1: error: instruction not supported on this GPU (gfx1031): ds_max_src2_i32
// GFX1032: :[[@LINE-3]]:1: error: instruction not supported on this GPU (gfx1032): ds_max_src2_i32
// GFX1033: :[[@LINE-4]]:1: error: instruction not supported on this GPU (gfx1033): ds_max_src2_i32
// GFX1034: :[[@LINE-5]]:1: error: instruction not supported on this GPU (gfx1034): ds_max_src2_i32
// GFX1035: :[[@LINE-6]]:1: error: instruction not supported on this GPU (gfx1035): ds_max_src2_i32
// GFX1036: :[[@LINE-7]]:1: error: instruction not supported on this GPU (gfx1036): ds_max_src2_i32

ds_max_src2_i64 v1 offset:65535
// GFX1030: :[[@LINE-1]]:1: error: instruction not supported on this GPU (gfx1030): ds_max_src2_i64
// GFX1031: :[[@LINE-2]]:1: error: instruction not supported on this GPU (gfx1031): ds_max_src2_i64
// GFX1032: :[[@LINE-3]]:1: error: instruction not supported on this GPU (gfx1032): ds_max_src2_i64
// GFX1033: :[[@LINE-4]]:1: error: instruction not supported on this GPU (gfx1033): ds_max_src2_i64
// GFX1034: :[[@LINE-5]]:1: error: instruction not supported on this GPU (gfx1034): ds_max_src2_i64
// GFX1035: :[[@LINE-6]]:1: error: instruction not supported on this GPU (gfx1035): ds_max_src2_i64
// GFX1036: :[[@LINE-7]]:1: error: instruction not supported on this GPU (gfx1036): ds_max_src2_i64

ds_max_src2_u32 v1 offset:65535
// GFX1030: :[[@LINE-1]]:1: error: instruction not supported on this GPU (gfx1030): ds_max_src2_u32
// GFX1031: :[[@LINE-2]]:1: error: instruction not supported on this GPU (gfx1031): ds_max_src2_u32
// GFX1032: :[[@LINE-3]]:1: error: instruction not supported on this GPU (gfx1032): ds_max_src2_u32
// GFX1033: :[[@LINE-4]]:1: error: instruction not supported on this GPU (gfx1033): ds_max_src2_u32
// GFX1034: :[[@LINE-5]]:1: error: instruction not supported on this GPU (gfx1034): ds_max_src2_u32
// GFX1035: :[[@LINE-6]]:1: error: instruction not supported on this GPU (gfx1035): ds_max_src2_u32
// GFX1036: :[[@LINE-7]]:1: error: instruction not supported on this GPU (gfx1036): ds_max_src2_u32

ds_max_src2_u64 v1 offset:65535
// GFX1030: :[[@LINE-1]]:1: error: instruction not supported on this GPU (gfx1030): ds_max_src2_u64
// GFX1031: :[[@LINE-2]]:1: error: instruction not supported on this GPU (gfx1031): ds_max_src2_u64
// GFX1032: :[[@LINE-3]]:1: error: instruction not supported on this GPU (gfx1032): ds_max_src2_u64
// GFX1033: :[[@LINE-4]]:1: error: instruction not supported on this GPU (gfx1033): ds_max_src2_u64
// GFX1034: :[[@LINE-5]]:1: error: instruction not supported on this GPU (gfx1034): ds_max_src2_u64
// GFX1035: :[[@LINE-6]]:1: error: instruction not supported on this GPU (gfx1035): ds_max_src2_u64
// GFX1036: :[[@LINE-7]]:1: error: instruction not supported on this GPU (gfx1036): ds_max_src2_u64

ds_min_src2_f32 v1 offset:65535
// GFX1030: :[[@LINE-1]]:1: error: instruction not supported on this GPU (gfx1030): ds_min_src2_f32
// GFX1031: :[[@LINE-2]]:1: error: instruction not supported on this GPU (gfx1031): ds_min_src2_f32
// GFX1032: :[[@LINE-3]]:1: error: instruction not supported on this GPU (gfx1032): ds_min_src2_f32
// GFX1033: :[[@LINE-4]]:1: error: instruction not supported on this GPU (gfx1033): ds_min_src2_f32
// GFX1034: :[[@LINE-5]]:1: error: instruction not supported on this GPU (gfx1034): ds_min_src2_f32
// GFX1035: :[[@LINE-6]]:1: error: instruction not supported on this GPU (gfx1035): ds_min_src2_f32
// GFX1036: :[[@LINE-7]]:1: error: instruction not supported on this GPU (gfx1036): ds_min_src2_f32

ds_min_src2_f64 v1 offset:65535
// GFX1030: :[[@LINE-1]]:1: error: instruction not supported on this GPU (gfx1030): ds_min_src2_f64
// GFX1031: :[[@LINE-2]]:1: error: instruction not supported on this GPU (gfx1031): ds_min_src2_f64
// GFX1032: :[[@LINE-3]]:1: error: instruction not supported on this GPU (gfx1032): ds_min_src2_f64
// GFX1033: :[[@LINE-4]]:1: error: instruction not supported on this GPU (gfx1033): ds_min_src2_f64
// GFX1034: :[[@LINE-5]]:1: error: instruction not supported on this GPU (gfx1034): ds_min_src2_f64
// GFX1035: :[[@LINE-6]]:1: error: instruction not supported on this GPU (gfx1035): ds_min_src2_f64
// GFX1036: :[[@LINE-7]]:1: error: instruction not supported on this GPU (gfx1036): ds_min_src2_f64

ds_min_src2_i32 v1 offset:65535
// GFX1030: :[[@LINE-1]]:1: error: instruction not supported on this GPU (gfx1030): ds_min_src2_i32
// GFX1031: :[[@LINE-2]]:1: error: instruction not supported on this GPU (gfx1031): ds_min_src2_i32
// GFX1032: :[[@LINE-3]]:1: error: instruction not supported on this GPU (gfx1032): ds_min_src2_i32
// GFX1033: :[[@LINE-4]]:1: error: instruction not supported on this GPU (gfx1033): ds_min_src2_i32
// GFX1034: :[[@LINE-5]]:1: error: instruction not supported on this GPU (gfx1034): ds_min_src2_i32
// GFX1035: :[[@LINE-6]]:1: error: instruction not supported on this GPU (gfx1035): ds_min_src2_i32
// GFX1036: :[[@LINE-7]]:1: error: instruction not supported on this GPU (gfx1036): ds_min_src2_i32

ds_min_src2_i64 v1 offset:65535
// GFX1030: :[[@LINE-1]]:1: error: instruction not supported on this GPU (gfx1030): ds_min_src2_i64
// GFX1031: :[[@LINE-2]]:1: error: instruction not supported on this GPU (gfx1031): ds_min_src2_i64
// GFX1032: :[[@LINE-3]]:1: error: instruction not supported on this GPU (gfx1032): ds_min_src2_i64
// GFX1033: :[[@LINE-4]]:1: error: instruction not supported on this GPU (gfx1033): ds_min_src2_i64
// GFX1034: :[[@LINE-5]]:1: error: instruction not supported on this GPU (gfx1034): ds_min_src2_i64
// GFX1035: :[[@LINE-6]]:1: error: instruction not supported on this GPU (gfx1035): ds_min_src2_i64
// GFX1036: :[[@LINE-7]]:1: error: instruction not supported on this GPU (gfx1036): ds_min_src2_i64

ds_min_src2_u32 v1 offset:65535
// GFX1030: :[[@LINE-1]]:1: error: instruction not supported on this GPU (gfx1030): ds_min_src2_u32
// GFX1031: :[[@LINE-2]]:1: error: instruction not supported on this GPU (gfx1031): ds_min_src2_u32
// GFX1032: :[[@LINE-3]]:1: error: instruction not supported on this GPU (gfx1032): ds_min_src2_u32
// GFX1033: :[[@LINE-4]]:1: error: instruction not supported on this GPU (gfx1033): ds_min_src2_u32
// GFX1034: :[[@LINE-5]]:1: error: instruction not supported on this GPU (gfx1034): ds_min_src2_u32
// GFX1035: :[[@LINE-6]]:1: error: instruction not supported on this GPU (gfx1035): ds_min_src2_u32
// GFX1036: :[[@LINE-7]]:1: error: instruction not supported on this GPU (gfx1036): ds_min_src2_u32

ds_min_src2_u64 v1 offset:65535
// GFX1030: :[[@LINE-1]]:1: error: instruction not supported on this GPU (gfx1030): ds_min_src2_u64
// GFX1031: :[[@LINE-2]]:1: error: instruction not supported on this GPU (gfx1031): ds_min_src2_u64
// GFX1032: :[[@LINE-3]]:1: error: instruction not supported on this GPU (gfx1032): ds_min_src2_u64
// GFX1033: :[[@LINE-4]]:1: error: instruction not supported on this GPU (gfx1033): ds_min_src2_u64
// GFX1034: :[[@LINE-5]]:1: error: instruction not supported on this GPU (gfx1034): ds_min_src2_u64
// GFX1035: :[[@LINE-6]]:1: error: instruction not supported on this GPU (gfx1035): ds_min_src2_u64
// GFX1036: :[[@LINE-7]]:1: error: instruction not supported on this GPU (gfx1036): ds_min_src2_u64

ds_or_src2_b32 v1 offset:65535
// GFX1030: :[[@LINE-1]]:1: error: instruction not supported on this GPU (gfx1030): ds_or_src2_b32
// GFX1031: :[[@LINE-2]]:1: error: instruction not supported on this GPU (gfx1031): ds_or_src2_b32
// GFX1032: :[[@LINE-3]]:1: error: instruction not supported on this GPU (gfx1032): ds_or_src2_b32
// GFX1033: :[[@LINE-4]]:1: error: instruction not supported on this GPU (gfx1033): ds_or_src2_b32
// GFX1034: :[[@LINE-5]]:1: error: instruction not supported on this GPU (gfx1034): ds_or_src2_b32
// GFX1035: :[[@LINE-6]]:1: error: instruction not supported on this GPU (gfx1035): ds_or_src2_b32
// GFX1036: :[[@LINE-7]]:1: error: instruction not supported on this GPU (gfx1036): ds_or_src2_b32

ds_or_src2_b64 v1 offset:65535
// GFX1030: :[[@LINE-1]]:1: error: instruction not supported on this GPU (gfx1030): ds_or_src2_b64
// GFX1031: :[[@LINE-2]]:1: error: instruction not supported on this GPU (gfx1031): ds_or_src2_b64
// GFX1032: :[[@LINE-3]]:1: error: instruction not supported on this GPU (gfx1032): ds_or_src2_b64
// GFX1033: :[[@LINE-4]]:1: error: instruction not supported on this GPU (gfx1033): ds_or_src2_b64
// GFX1034: :[[@LINE-5]]:1: error: instruction not supported on this GPU (gfx1034): ds_or_src2_b64
// GFX1035: :[[@LINE-6]]:1: error: instruction not supported on this GPU (gfx1035): ds_or_src2_b64
// GFX1036: :[[@LINE-7]]:1: error: instruction not supported on this GPU (gfx1036): ds_or_src2_b64

ds_rsub_src2_u32 v1 offset:65535
// GFX1030: :[[@LINE-1]]:1: error: instruction not supported on this GPU (gfx1030): ds_rsub_src2_u32
// GFX1031: :[[@LINE-2]]:1: error: instruction not supported on this GPU (gfx1031): ds_rsub_src2_u32
// GFX1032: :[[@LINE-3]]:1: error: instruction not supported on this GPU (gfx1032): ds_rsub_src2_u32
// GFX1033: :[[@LINE-4]]:1: error: instruction not supported on this GPU (gfx1033): ds_rsub_src2_u32
// GFX1034: :[[@LINE-5]]:1: error: instruction not supported on this GPU (gfx1034): ds_rsub_src2_u32
// GFX1035: :[[@LINE-6]]:1: error: instruction not supported on this GPU (gfx1035): ds_rsub_src2_u32
// GFX1036: :[[@LINE-7]]:1: error: instruction not supported on this GPU (gfx1036): ds_rsub_src2_u32

ds_rsub_src2_u64 v1 offset:65535
// GFX1030: :[[@LINE-1]]:1: error: instruction not supported on this GPU (gfx1030): ds_rsub_src2_u64
// GFX1031: :[[@LINE-2]]:1: error: instruction not supported on this GPU (gfx1031): ds_rsub_src2_u64
// GFX1032: :[[@LINE-3]]:1: error: instruction not supported on this GPU (gfx1032): ds_rsub_src2_u64
// GFX1033: :[[@LINE-4]]:1: error: instruction not supported on this GPU (gfx1033): ds_rsub_src2_u64
// GFX1034: :[[@LINE-5]]:1: error: instruction not supported on this GPU (gfx1034): ds_rsub_src2_u64
// GFX1035: :[[@LINE-6]]:1: error: instruction not supported on this GPU (gfx1035): ds_rsub_src2_u64
// GFX1036: :[[@LINE-7]]:1: error: instruction not supported on this GPU (gfx1036): ds_rsub_src2_u64

ds_sub_src2_u32 v1 offset:65535
// GFX1030: :[[@LINE-1]]:1: error: instruction not supported on this GPU (gfx1030): ds_sub_src2_u32
// GFX1031: :[[@LINE-2]]:1: error: instruction not supported on this GPU (gfx1031): ds_sub_src2_u32
// GFX1032: :[[@LINE-3]]:1: error: instruction not supported on this GPU (gfx1032): ds_sub_src2_u32
// GFX1033: :[[@LINE-4]]:1: error: instruction not supported on this GPU (gfx1033): ds_sub_src2_u32
// GFX1034: :[[@LINE-5]]:1: error: instruction not supported on this GPU (gfx1034): ds_sub_src2_u32
// GFX1035: :[[@LINE-6]]:1: error: instruction not supported on this GPU (gfx1035): ds_sub_src2_u32
// GFX1036: :[[@LINE-7]]:1: error: instruction not supported on this GPU (gfx1036): ds_sub_src2_u32

ds_sub_src2_u64 v1 offset:65535
// GFX1030: :[[@LINE-1]]:1: error: instruction not supported on this GPU (gfx1030): ds_sub_src2_u64
// GFX1031: :[[@LINE-2]]:1: error: instruction not supported on this GPU (gfx1031): ds_sub_src2_u64
// GFX1032: :[[@LINE-3]]:1: error: instruction not supported on this GPU (gfx1032): ds_sub_src2_u64
// GFX1033: :[[@LINE-4]]:1: error: instruction not supported on this GPU (gfx1033): ds_sub_src2_u64
// GFX1034: :[[@LINE-5]]:1: error: instruction not supported on this GPU (gfx1034): ds_sub_src2_u64
// GFX1035: :[[@LINE-6]]:1: error: instruction not supported on this GPU (gfx1035): ds_sub_src2_u64
// GFX1036: :[[@LINE-7]]:1: error: instruction not supported on this GPU (gfx1036): ds_sub_src2_u64

ds_write_src2_b32 v1 offset:65535
// GFX1030: :[[@LINE-1]]:1: error: instruction not supported on this GPU (gfx1030): ds_write_src2_b32
// GFX1031: :[[@LINE-2]]:1: error: instruction not supported on this GPU (gfx1031): ds_write_src2_b32
// GFX1032: :[[@LINE-3]]:1: error: instruction not supported on this GPU (gfx1032): ds_write_src2_b32
// GFX1033: :[[@LINE-4]]:1: error: instruction not supported on this GPU (gfx1033): ds_write_src2_b32
// GFX1034: :[[@LINE-5]]:1: error: instruction not supported on this GPU (gfx1034): ds_write_src2_b32
// GFX1035: :[[@LINE-6]]:1: error: instruction not supported on this GPU (gfx1035): ds_write_src2_b32
// GFX1036: :[[@LINE-7]]:1: error: instruction not supported on this GPU (gfx1036): ds_write_src2_b32

ds_write_src2_b64 v1 offset:65535
// GFX1030: :[[@LINE-1]]:1: error: instruction not supported on this GPU (gfx1030): ds_write_src2_b64
// GFX1031: :[[@LINE-2]]:1: error: instruction not supported on this GPU (gfx1031): ds_write_src2_b64
// GFX1032: :[[@LINE-3]]:1: error: instruction not supported on this GPU (gfx1032): ds_write_src2_b64
// GFX1033: :[[@LINE-4]]:1: error: instruction not supported on this GPU (gfx1033): ds_write_src2_b64
// GFX1034: :[[@LINE-5]]:1: error: instruction not supported on this GPU (gfx1034): ds_write_src2_b64
// GFX1035: :[[@LINE-6]]:1: error: instruction not supported on this GPU (gfx1035): ds_write_src2_b64
// GFX1036: :[[@LINE-7]]:1: error: instruction not supported on this GPU (gfx1036): ds_write_src2_b64

ds_xor_src2_b32 v1 offset:65535
// GFX1030: :[[@LINE-1]]:1: error: instruction not supported on this GPU (gfx1030): ds_xor_src2_b32
// GFX1031: :[[@LINE-2]]:1: error: instruction not supported on this GPU (gfx1031): ds_xor_src2_b32
// GFX1032: :[[@LINE-3]]:1: error: instruction not supported on this GPU (gfx1032): ds_xor_src2_b32
// GFX1033: :[[@LINE-4]]:1: error: instruction not supported on this GPU (gfx1033): ds_xor_src2_b32
// GFX1034: :[[@LINE-5]]:1: error: instruction not supported on this GPU (gfx1034): ds_xor_src2_b32
// GFX1035: :[[@LINE-6]]:1: error: instruction not supported on this GPU (gfx1035): ds_xor_src2_b32
// GFX1036: :[[@LINE-7]]:1: error: instruction not supported on this GPU (gfx1036): ds_xor_src2_b32

ds_xor_src2_b64 v1 offset:65535
// GFX1030: :[[@LINE-1]]:1: error: instruction not supported on this GPU (gfx1030): ds_xor_src2_b64
// GFX1031: :[[@LINE-2]]:1: error: instruction not supported on this GPU (gfx1031): ds_xor_src2_b64
// GFX1032: :[[@LINE-3]]:1: error: instruction not supported on this GPU (gfx1032): ds_xor_src2_b64
// GFX1033: :[[@LINE-4]]:1: error: instruction not supported on this GPU (gfx1033): ds_xor_src2_b64
// GFX1034: :[[@LINE-5]]:1: error: instruction not supported on this GPU (gfx1034): ds_xor_src2_b64
// GFX1035: :[[@LINE-6]]:1: error: instruction not supported on this GPU (gfx1035): ds_xor_src2_b64
// GFX1036: :[[@LINE-7]]:1: error: instruction not supported on this GPU (gfx1036): ds_xor_src2_b64

image_bvh64_intersect_ray v[4:7], v[9:20], null
// GFX10: :[[@LINE-1]]:44: error: invalid operand for instruction

image_bvh_intersect_ray v[39:42], [v50, v46, v23, v17, v16, v15, v21, v20], s[12:15] noa16
// GFX10: :[[@LINE-1]]:1: error: image address size does not match a16

image_bvh_intersect_ray v[4:7], v[9:16], s[4:7] noa16
// GFX10: :[[@LINE-1]]:1: error: image address size does not match a16

image_bvh_intersect_ray v[4:7], v[9:19], null
// GFX10: :[[@LINE-1]]:42: error: invalid operand for instruction

image_msaa_load v5, v[1:2], s[8:15] dmask:0x1 dim:SQ_RSRC_IMG_2D d16
// GFX10: :[[@LINE-1]]:47: error: invalid dim; must be MSAA type

image_msaa_load v[1:4], v5, s[8:15] dmask:0xf dim:SQ_RSRC_IMG_1D
// GFX10: :[[@LINE-1]]:47: error: invalid dim; must be MSAA type

// missing dim
image_msaa_load v[1:4], v[5:7], s[8:15] dmask:0xf glc
// GFX10: :[[@LINE-1]]:1: error: missing dim operand

s_get_waveid_in_workgroup s0
// GFX1030: :[[@LINE-1]]:1: error: instruction not supported on this GPU (gfx1030): s_get_waveid_in_workgroup
// GFX1031: :[[@LINE-2]]:1: error: instruction not supported on this GPU (gfx1031): s_get_waveid_in_workgroup
// GFX1032: :[[@LINE-3]]:1: error: instruction not supported on this GPU (gfx1032): s_get_waveid_in_workgroup
// GFX1033: :[[@LINE-4]]:1: error: instruction not supported on this GPU (gfx1033): s_get_waveid_in_workgroup
// GFX1034: :[[@LINE-5]]:1: error: instruction not supported on this GPU (gfx1034): s_get_waveid_in_workgroup
// GFX1035: :[[@LINE-6]]:1: error: instruction not supported on this GPU (gfx1035): s_get_waveid_in_workgroup
// GFX1036: :[[@LINE-7]]:1: error: instruction not supported on this GPU (gfx1036): s_get_waveid_in_workgroup

s_getreg_b32 s2, hwreg(HW_REG_XNACK_MASK)
// GFX10: :[[@LINE-1]]:24: error: invalid hardware register: not supported on this GPU

s_waitcnt_depctr depctr_hold_cnt(-1)
// GFX10: :[[@LINE-1]]:18: error: invalid value for depctr_hold_cnt

s_waitcnt_depctr depctr_hold_cnt(0) depctr_hold_cnt(0)
// GFX10: :[[@LINE-1]]:37: error: duplicate counter name depctr_hold_cnt

s_waitcnt_depctr depctr_hold_cnt(2)
// GFX10: :[[@LINE-1]]:18: error: invalid value for depctr_hold_cnt

s_waitcnt_depctr depctr_sa_sdst(-1)
// GFX10: :[[@LINE-1]]:18: error: invalid value for depctr_sa_sdst

s_waitcnt_depctr depctr_sa_sdst(0) depctr_sa_sdst(0)
// GFX10: :[[@LINE-1]]:36: error: duplicate counter name depctr_sa_sdst

s_waitcnt_depctr depctr_sa_sdst(2)
// GFX10: :[[@LINE-1]]:18: error: invalid value for depctr_sa_sdst

s_waitcnt_depctr depctr_va_sdst(-1)
// GFX10: :[[@LINE-1]]:18: error: invalid value for depctr_va_sdst

s_waitcnt_depctr depctr_va_sdst(8)
// GFX10: :[[@LINE-1]]:18: error: invalid value for depctr_va_sdst

s_waitcnt_depctr depctr_va_ssrc(-1)
// GFX10: :[[@LINE-1]]:18: error: invalid value for depctr_va_ssrc

s_waitcnt_depctr depctr_va_ssrc(2)
// GFX10: :[[@LINE-1]]:18: error: invalid value for depctr_va_ssrc

s_waitcnt_depctr depctr_va_vcc(-1)
// GFX10: :[[@LINE-1]]:18: error: invalid value for depctr_va_vcc

s_waitcnt_depctr depctr_va_vcc(2)
// GFX10: :[[@LINE-1]]:18: error: invalid value for depctr_va_vcc

s_waitcnt_depctr depctr_va_vdst(-1)
// GFX10: :[[@LINE-1]]:18: error: invalid value for depctr_va_vdst

s_waitcnt_depctr depctr_va_vdst(16)
// GFX10: :[[@LINE-1]]:18: error: invalid value for depctr_va_vdst

s_waitcnt_depctr depctr_vm_(8)
// GFX10: :[[@LINE-1]]:18: error: invalid counter name depctr_vm_

s_waitcnt_depctr depctr_vm_vsrc(-1)
// GFX10: :[[@LINE-1]]:18: error: invalid value for depctr_vm_vsrc

s_waitcnt_depctr depctr_vm_vsrc(8)
// GFX10: :[[@LINE-1]]:18: error: invalid value for depctr_vm_vsrc

v_dot4_i32_i8 v0, v1, v2, v3 op_sel:[0,0]
// GFX10: :[[@LINE-1]]:30: error: not a valid operand.

v_dot4_i32_i8 v0, v1, v2, v3 op_sel:[0,0] op_sel_hi:[0,0]
// GFX10: :[[@LINE-1]]:30: error: not a valid operand.

v_dot4_i32_i8 v0, v1, v2, v3 op_sel:[0,0] op_sel_hi:[0,1]
// GFX10: :[[@LINE-1]]:30: error: not a valid operand.

v_dot4_i32_i8 v0, v1, v2, v3 op_sel:[0,0] op_sel_hi:[1,0]
// GFX10: :[[@LINE-1]]:30: error: not a valid operand.

v_dot4_i32_i8 v0, v1, v2, v3 op_sel:[0,0] op_sel_hi:[1,1]
// GFX10: :[[@LINE-1]]:30: error: not a valid operand.

v_dot4_i32_i8 v0, v1, v2, v3 op_sel:[0,1]
// GFX10: :[[@LINE-1]]:30: error: not a valid operand.

v_dot4_i32_i8 v0, v1, v2, v3 op_sel:[0,1] op_sel_hi:[0,0]
// GFX10: :[[@LINE-1]]:30: error: not a valid operand.

v_dot4_i32_i8 v0, v1, v2, v3 op_sel:[0,1] op_sel_hi:[0,1]
// GFX10: :[[@LINE-1]]:30: error: not a valid operand.

v_dot4_i32_i8 v0, v1, v2, v3 op_sel:[0,1] op_sel_hi:[1,0]
// GFX10: :[[@LINE-1]]:30: error: not a valid operand.

v_dot4_i32_i8 v0, v1, v2, v3 op_sel:[0,1] op_sel_hi:[1,1]
// GFX10: :[[@LINE-1]]:30: error: not a valid operand.
	;; [unrolled: 15-line block ×4, first 2 shown]

v_dot4_i32_i8 v0, v1, v2, v3 op_sel_hi:[0,0]
// GFX10: :[[@LINE-1]]:30: error: not a valid operand.

v_dot4_i32_i8 v0, v1, v2, v3 op_sel_hi:[0,1]
// GFX10: :[[@LINE-1]]:30: error: not a valid operand.
	;; [unrolled: 3-line block ×4, first 2 shown]

v_dot4_u32_u8 v0, v1, v2, v3 op_sel:[0,0]
// GFX10: :[[@LINE-1]]:30: error: not a valid operand.

v_dot4_u32_u8 v0, v1, v2, v3 op_sel:[0,0] op_sel_hi:[0,0]
// GFX10: :[[@LINE-1]]:30: error: not a valid operand.

v_dot4_u32_u8 v0, v1, v2, v3 op_sel:[0,0] op_sel_hi:[0,1]
// GFX10: :[[@LINE-1]]:30: error: not a valid operand.

v_dot4_u32_u8 v0, v1, v2, v3 op_sel:[0,0] op_sel_hi:[1,0]
// GFX10: :[[@LINE-1]]:30: error: not a valid operand.

v_dot4_u32_u8 v0, v1, v2, v3 op_sel:[0,0] op_sel_hi:[1,1]
// GFX10: :[[@LINE-1]]:30: error: not a valid operand.

v_dot4_u32_u8 v0, v1, v2, v3 op_sel:[0,1]
// GFX10: :[[@LINE-1]]:30: error: not a valid operand.

v_dot4_u32_u8 v0, v1, v2, v3 op_sel:[0,1] op_sel_hi:[0,0]
// GFX10: :[[@LINE-1]]:30: error: not a valid operand.

v_dot4_u32_u8 v0, v1, v2, v3 op_sel:[0,1] op_sel_hi:[0,1]
// GFX10: :[[@LINE-1]]:30: error: not a valid operand.

v_dot4_u32_u8 v0, v1, v2, v3 op_sel:[0,1] op_sel_hi:[1,0]
// GFX10: :[[@LINE-1]]:30: error: not a valid operand.

v_dot4_u32_u8 v0, v1, v2, v3 op_sel:[0,1] op_sel_hi:[1,1]
// GFX10: :[[@LINE-1]]:30: error: not a valid operand.
	;; [unrolled: 15-line block ×4, first 2 shown]

v_dot4_u32_u8 v0, v1, v2, v3 op_sel_hi:[0,0]
// GFX10: :[[@LINE-1]]:30: error: not a valid operand.

v_dot4_u32_u8 v0, v1, v2, v3 op_sel_hi:[0,1]
// GFX10: :[[@LINE-1]]:30: error: not a valid operand.
	;; [unrolled: 3-line block ×4, first 2 shown]

v_dot4c_i32_i8 v0, v1, v2, v3 op_sel:[0,0]
// GFX10: :[[@LINE-1]]:31: error: not a valid operand.

v_dot4c_i32_i8 v0, v1, v2, v3 op_sel:[0,0] op_sel_hi:[0,0]
// GFX10: :[[@LINE-1]]:31: error: not a valid operand.

v_dot4c_i32_i8 v0, v1, v2, v3 op_sel:[0,0] op_sel_hi:[0,1]
// GFX10: :[[@LINE-1]]:31: error: not a valid operand.

v_dot4c_i32_i8 v0, v1, v2, v3 op_sel:[0,0] op_sel_hi:[1,0]
// GFX10: :[[@LINE-1]]:31: error: not a valid operand.

v_dot4c_i32_i8 v0, v1, v2, v3 op_sel:[0,0] op_sel_hi:[1,1]
// GFX10: :[[@LINE-1]]:31: error: not a valid operand.

v_dot4c_i32_i8 v0, v1, v2, v3 op_sel:[0,1]
// GFX10: :[[@LINE-1]]:31: error: not a valid operand.

v_dot4c_i32_i8 v0, v1, v2, v3 op_sel:[0,1] op_sel_hi:[0,0]
// GFX10: :[[@LINE-1]]:31: error: not a valid operand.

v_dot4c_i32_i8 v0, v1, v2, v3 op_sel:[0,1] op_sel_hi:[0,1]
// GFX10: :[[@LINE-1]]:31: error: not a valid operand.

v_dot4c_i32_i8 v0, v1, v2, v3 op_sel:[0,1] op_sel_hi:[1,0]
// GFX10: :[[@LINE-1]]:31: error: not a valid operand.

v_dot4c_i32_i8 v0, v1, v2, v3 op_sel:[0,1] op_sel_hi:[1,1]
// GFX10: :[[@LINE-1]]:31: error: not a valid operand.
	;; [unrolled: 15-line block ×4, first 2 shown]

v_dot4c_i32_i8 v0, v1, v2, v3 op_sel_hi:[0,0]
// GFX10: :[[@LINE-1]]:31: error: not a valid operand.

v_dot4c_i32_i8 v0, v1, v2, v3 op_sel_hi:[0,1]
// GFX10: :[[@LINE-1]]:31: error: not a valid operand.
	;; [unrolled: 3-line block ×4, first 2 shown]

v_dot8_i32_i4 v0, v1, v2, v3 op_sel:[0,0]
// GFX10: :[[@LINE-1]]:30: error: not a valid operand.

v_dot8_i32_i4 v0, v1, v2, v3 op_sel:[0,0] op_sel_hi:[0,0]
// GFX10: :[[@LINE-1]]:30: error: not a valid operand.

v_dot8_i32_i4 v0, v1, v2, v3 op_sel:[0,0] op_sel_hi:[0,1]
// GFX10: :[[@LINE-1]]:30: error: not a valid operand.

v_dot8_i32_i4 v0, v1, v2, v3 op_sel:[0,0] op_sel_hi:[1,0]
// GFX10: :[[@LINE-1]]:30: error: not a valid operand.

v_dot8_i32_i4 v0, v1, v2, v3 op_sel:[0,0] op_sel_hi:[1,1]
// GFX10: :[[@LINE-1]]:30: error: not a valid operand.

v_dot8_i32_i4 v0, v1, v2, v3 op_sel:[0,1]
// GFX10: :[[@LINE-1]]:30: error: not a valid operand.

v_dot8_i32_i4 v0, v1, v2, v3 op_sel:[0,1] op_sel_hi:[0,0]
// GFX10: :[[@LINE-1]]:30: error: not a valid operand.

v_dot8_i32_i4 v0, v1, v2, v3 op_sel:[0,1] op_sel_hi:[0,1]
// GFX10: :[[@LINE-1]]:30: error: not a valid operand.

v_dot8_i32_i4 v0, v1, v2, v3 op_sel:[0,1] op_sel_hi:[1,0]
// GFX10: :[[@LINE-1]]:30: error: not a valid operand.

v_dot8_i32_i4 v0, v1, v2, v3 op_sel:[0,1] op_sel_hi:[1,1]
// GFX10: :[[@LINE-1]]:30: error: not a valid operand.
	;; [unrolled: 15-line block ×4, first 2 shown]

v_dot8_i32_i4 v0, v1, v2, v3 op_sel_hi:[0,0]
// GFX10: :[[@LINE-1]]:30: error: not a valid operand.

v_dot8_i32_i4 v0, v1, v2, v3 op_sel_hi:[0,1]
// GFX10: :[[@LINE-1]]:30: error: not a valid operand.
	;; [unrolled: 3-line block ×4, first 2 shown]

v_dot8_u32_u4 v0, v1, v2, v3 op_sel:[0,0]
// GFX10: :[[@LINE-1]]:30: error: not a valid operand.

v_dot8_u32_u4 v0, v1, v2, v3 op_sel:[0,0] op_sel_hi:[0,0]
// GFX10: :[[@LINE-1]]:30: error: not a valid operand.

v_dot8_u32_u4 v0, v1, v2, v3 op_sel:[0,0] op_sel_hi:[0,1]
// GFX10: :[[@LINE-1]]:30: error: not a valid operand.

v_dot8_u32_u4 v0, v1, v2, v3 op_sel:[0,0] op_sel_hi:[1,0]
// GFX10: :[[@LINE-1]]:30: error: not a valid operand.

v_dot8_u32_u4 v0, v1, v2, v3 op_sel:[0,0] op_sel_hi:[1,1]
// GFX10: :[[@LINE-1]]:30: error: not a valid operand.

v_dot8_u32_u4 v0, v1, v2, v3 op_sel:[0,1]
// GFX10: :[[@LINE-1]]:30: error: not a valid operand.

v_dot8_u32_u4 v0, v1, v2, v3 op_sel:[0,1] op_sel_hi:[0,0]
// GFX10: :[[@LINE-1]]:30: error: not a valid operand.

v_dot8_u32_u4 v0, v1, v2, v3 op_sel:[0,1] op_sel_hi:[0,1]
// GFX10: :[[@LINE-1]]:30: error: not a valid operand.

v_dot8_u32_u4 v0, v1, v2, v3 op_sel:[0,1] op_sel_hi:[1,0]
// GFX10: :[[@LINE-1]]:30: error: not a valid operand.

v_dot8_u32_u4 v0, v1, v2, v3 op_sel:[0,1] op_sel_hi:[1,1]
// GFX10: :[[@LINE-1]]:30: error: not a valid operand.
	;; [unrolled: 15-line block ×4, first 2 shown]

v_dot8_u32_u4 v0, v1, v2, v3 op_sel_hi:[0,0]
// GFX10: :[[@LINE-1]]:30: error: not a valid operand.

v_dot8_u32_u4 v0, v1, v2, v3 op_sel_hi:[0,1]
// GFX10: :[[@LINE-1]]:30: error: not a valid operand.
	;; [unrolled: 3-line block ×4, first 2 shown]

v_dot8c_i32_i4 v5, v1, v2
// GFX1030: :[[@LINE-1]]:1: error: instruction not supported on this GPU (gfx1030): v_dot8c_i32_i4
// GFX1031: :[[@LINE-2]]:1: error: instruction not supported on this GPU (gfx1031): v_dot8c_i32_i4
// GFX1032: :[[@LINE-3]]:1: error: instruction not supported on this GPU (gfx1032): v_dot8c_i32_i4
// GFX1033: :[[@LINE-4]]:1: error: instruction not supported on this GPU (gfx1033): v_dot8c_i32_i4
// GFX1034: :[[@LINE-5]]:1: error: instruction not supported on this GPU (gfx1034): v_dot8c_i32_i4
// GFX1035: :[[@LINE-6]]:1: error: instruction not supported on this GPU (gfx1035): v_dot8c_i32_i4
// GFX1036: :[[@LINE-7]]:1: error: instruction not supported on this GPU (gfx1036): v_dot8c_i32_i4

v_dot8c_i32_i4 v5, v1, v2 dpp8:[7,6,5,4,3,2,1,0]
// GFX1030: :[[@LINE-1]]:1: error: instruction not supported on this GPU (gfx1030): v_dot8c_i32_i4
// GFX1031: :[[@LINE-2]]:1: error: instruction not supported on this GPU (gfx1031): v_dot8c_i32_i4
// GFX1032: :[[@LINE-3]]:1: error: instruction not supported on this GPU (gfx1032): v_dot8c_i32_i4
// GFX1033: :[[@LINE-4]]:1: error: instruction not supported on this GPU (gfx1033): v_dot8c_i32_i4
// GFX1034: :[[@LINE-5]]:1: error: instruction not supported on this GPU (gfx1034): v_dot8c_i32_i4
// GFX1035: :[[@LINE-6]]:1: error: instruction not supported on this GPU (gfx1035): v_dot8c_i32_i4
// GFX1036: :[[@LINE-7]]:1: error: instruction not supported on this GPU (gfx1036): v_dot8c_i32_i4

v_dot8c_i32_i4 v5, v1, v2 dpp8:[7,6,5,4,3,2,1,0] fi:1
// GFX1030: :[[@LINE-1]]:1: error: instruction not supported on this GPU (gfx1030): v_dot8c_i32_i4
// GFX1031: :[[@LINE-2]]:1: error: instruction not supported on this GPU (gfx1031): v_dot8c_i32_i4
// GFX1032: :[[@LINE-3]]:1: error: instruction not supported on this GPU (gfx1032): v_dot8c_i32_i4
// GFX1033: :[[@LINE-4]]:1: error: instruction not supported on this GPU (gfx1033): v_dot8c_i32_i4
// GFX1034: :[[@LINE-5]]:1: error: instruction not supported on this GPU (gfx1034): v_dot8c_i32_i4
// GFX1035: :[[@LINE-6]]:1: error: instruction not supported on this GPU (gfx1035): v_dot8c_i32_i4
// GFX1036: :[[@LINE-7]]:1: error: instruction not supported on this GPU (gfx1036): v_dot8c_i32_i4

v_dot8c_i32_i4 v5, v1, v2 quad_perm:[0,1,2,3] row_mask:0x0 bank_mask:0x0
// GFX1030: :[[@LINE-1]]:1: error: instruction not supported on this GPU (gfx1030): v_dot8c_i32_i4
// GFX1031: :[[@LINE-2]]:1: error: instruction not supported on this GPU (gfx1031): v_dot8c_i32_i4
// GFX1032: :[[@LINE-3]]:1: error: instruction not supported on this GPU (gfx1032): v_dot8c_i32_i4
// GFX1033: :[[@LINE-4]]:1: error: instruction not supported on this GPU (gfx1033): v_dot8c_i32_i4
// GFX1034: :[[@LINE-5]]:1: error: instruction not supported on this GPU (gfx1034): v_dot8c_i32_i4
// GFX1035: :[[@LINE-6]]:1: error: instruction not supported on this GPU (gfx1035): v_dot8c_i32_i4
// GFX1036: :[[@LINE-7]]:1: error: instruction not supported on this GPU (gfx1036): v_dot8c_i32_i4

v_dot8c_i32_i4 v5, v1, v2 quad_perm:[0,1,2,3] row_mask:0x0 bank_mask:0x0 fi:1
// GFX1030: :[[@LINE-1]]:1: error: instruction not supported on this GPU (gfx1030): v_dot8c_i32_i4
// GFX1031: :[[@LINE-2]]:1: error: instruction not supported on this GPU (gfx1031): v_dot8c_i32_i4
// GFX1032: :[[@LINE-3]]:1: error: instruction not supported on this GPU (gfx1032): v_dot8c_i32_i4
// GFX1033: :[[@LINE-4]]:1: error: instruction not supported on this GPU (gfx1033): v_dot8c_i32_i4
// GFX1034: :[[@LINE-5]]:1: error: instruction not supported on this GPU (gfx1034): v_dot8c_i32_i4
// GFX1035: :[[@LINE-6]]:1: error: instruction not supported on this GPU (gfx1035): v_dot8c_i32_i4
// GFX1036: :[[@LINE-7]]:1: error: instruction not supported on this GPU (gfx1036): v_dot8c_i32_i4

v_mac_f32 v0, v1, v2
// GFX1030: :[[@LINE-1]]:1: error: instruction not supported on this GPU (gfx1030): v_mac_f32
// GFX1031: :[[@LINE-2]]:1: error: instruction not supported on this GPU (gfx1031): v_mac_f32
// GFX1032: :[[@LINE-3]]:1: error: instruction not supported on this GPU (gfx1032): v_mac_f32
// GFX1033: :[[@LINE-4]]:1: error: instruction not supported on this GPU (gfx1033): v_mac_f32
// GFX1034: :[[@LINE-5]]:1: error: instruction not supported on this GPU (gfx1034): v_mac_f32
// GFX1035: :[[@LINE-6]]:1: error: instruction not supported on this GPU (gfx1035): v_mac_f32
// GFX1036: :[[@LINE-7]]:1: error: instruction not supported on this GPU (gfx1036): v_mac_f32

v_mac_legacy_f32 v0, v1, v2
// GFX1030: :[[@LINE-1]]:1: error: instruction not supported on this GPU (gfx1030): v_mac_legacy_f32
// GFX1031: :[[@LINE-2]]:1: error: instruction not supported on this GPU (gfx1031): v_mac_legacy_f32
// GFX1032: :[[@LINE-3]]:1: error: instruction not supported on this GPU (gfx1032): v_mac_legacy_f32
// GFX1033: :[[@LINE-4]]:1: error: instruction not supported on this GPU (gfx1033): v_mac_legacy_f32
// GFX1034: :[[@LINE-5]]:1: error: instruction not supported on this GPU (gfx1034): v_mac_legacy_f32
// GFX1035: :[[@LINE-6]]:1: error: instruction not supported on this GPU (gfx1035): v_mac_legacy_f32
// GFX1036: :[[@LINE-7]]:1: error: instruction not supported on this GPU (gfx1036): v_mac_legacy_f32

v_mad_f32 v0, v1, v2, v3
// GFX1030: :[[@LINE-1]]:1: error: instruction not supported on this GPU (gfx1030): v_mad_f32
// GFX1031: :[[@LINE-2]]:1: error: instruction not supported on this GPU (gfx1031): v_mad_f32
// GFX1032: :[[@LINE-3]]:1: error: instruction not supported on this GPU (gfx1032): v_mad_f32
// GFX1033: :[[@LINE-4]]:1: error: instruction not supported on this GPU (gfx1033): v_mad_f32
// GFX1034: :[[@LINE-5]]:1: error: instruction not supported on this GPU (gfx1034): v_mad_f32
// GFX1035: :[[@LINE-6]]:1: error: instruction not supported on this GPU (gfx1035): v_mad_f32
// GFX1036: :[[@LINE-7]]:1: error: instruction not supported on this GPU (gfx1036): v_mad_f32

v_mad_legacy_f32 v0, v1, v2, v3
// GFX1030: :[[@LINE-1]]:1: error: instruction not supported on this GPU (gfx1030): v_mad_legacy_f32
// GFX1031: :[[@LINE-2]]:1: error: instruction not supported on this GPU (gfx1031): v_mad_legacy_f32
// GFX1032: :[[@LINE-3]]:1: error: instruction not supported on this GPU (gfx1032): v_mad_legacy_f32
// GFX1033: :[[@LINE-4]]:1: error: instruction not supported on this GPU (gfx1033): v_mad_legacy_f32
// GFX1034: :[[@LINE-5]]:1: error: instruction not supported on this GPU (gfx1034): v_mad_legacy_f32
// GFX1035: :[[@LINE-6]]:1: error: instruction not supported on this GPU (gfx1035): v_mad_legacy_f32
// GFX1036: :[[@LINE-7]]:1: error: instruction not supported on this GPU (gfx1036): v_mad_legacy_f32

v_madak_f32 v0, v1, v2, 1
// GFX1030: :[[@LINE-1]]:1: error: instruction not supported on this GPU (gfx1030): v_madak_f32
// GFX1031: :[[@LINE-2]]:1: error: instruction not supported on this GPU (gfx1031): v_madak_f32
// GFX1032: :[[@LINE-3]]:1: error: instruction not supported on this GPU (gfx1032): v_madak_f32
// GFX1033: :[[@LINE-4]]:1: error: instruction not supported on this GPU (gfx1033): v_madak_f32
// GFX1034: :[[@LINE-5]]:1: error: instruction not supported on this GPU (gfx1034): v_madak_f32
// GFX1035: :[[@LINE-6]]:1: error: instruction not supported on this GPU (gfx1035): v_madak_f32
// GFX1036: :[[@LINE-7]]:1: error: instruction not supported on this GPU (gfx1036): v_madak_f32

v_madmk_f32 v0, v1, 1, v2
// GFX1030: :[[@LINE-1]]:1: error: instruction not supported on this GPU (gfx1030): v_madmk_f32
// GFX1031: :[[@LINE-2]]:1: error: instruction not supported on this GPU (gfx1031): v_madmk_f32
// GFX1032: :[[@LINE-3]]:1: error: instruction not supported on this GPU (gfx1032): v_madmk_f32
// GFX1033: :[[@LINE-4]]:1: error: instruction not supported on this GPU (gfx1033): v_madmk_f32
// GFX1034: :[[@LINE-5]]:1: error: instruction not supported on this GPU (gfx1034): v_madmk_f32
// GFX1035: :[[@LINE-6]]:1: error: instruction not supported on this GPU (gfx1035): v_madmk_f32
// GFX1036: :[[@LINE-7]]:1: error: instruction not supported on this GPU (gfx1036): v_madmk_f32
